;; amdgpu-corpus repo=zjin-lcf/HeCBench kind=compiled arch=gfx950 opt=O3
	.amdgcn_target "amdgcn-amd-amdhsa--gfx950"
	.amdhsa_code_object_version 6
	.text
	.protected	_Z16pair_HMM_forwardiiPA41_A4_A2_KdPA4_A2_A3_S_S3_PA2_S1_PS0_PA41_A4_A2_d ; -- Begin function _Z16pair_HMM_forwardiiPA41_A4_A2_KdPA4_A2_A3_S_S3_PA2_S1_PS0_PA41_A4_A2_d
	.globl	_Z16pair_HMM_forwardiiPA41_A4_A2_KdPA4_A2_A3_S_S3_PA2_S1_PS0_PA41_A4_A2_d
	.p2align	8
	.type	_Z16pair_HMM_forwardiiPA41_A4_A2_KdPA4_A2_A3_S_S3_PA2_S1_PS0_PA41_A4_A2_d,@function
_Z16pair_HMM_forwardiiPA41_A4_A2_KdPA4_A2_A3_S_S3_PA2_S1_PS0_PA41_A4_A2_d: ; @_Z16pair_HMM_forwardiiPA41_A4_A2_KdPA4_A2_A3_S_S3_PA2_S1_PS0_PA41_A4_A2_d
; %bb.0:
	s_load_dwordx8 s[4:11], s[0:1], 0x0
	v_lshlrev_b32_e32 v0, 3, v0
	s_mov_b64 s[20:21], -1
	s_waitcnt lgkmcnt(0)
	s_mul_i32 s23, s4, 0xa40
	s_mul_hi_i32 s22, s4, 0xa40
	s_add_u32 s3, s10, s23
	s_addc_u32 s10, s11, s22
	s_ashr_i32 s19, s5, 31
	s_mov_b32 s18, s5
	s_lshl_b64 s[14:15], s[18:19], 6
	s_add_u32 s12, s3, s14
	s_addc_u32 s13, s10, s15
	s_ashr_i32 s3, s2, 31
	s_lshl_b64 s[10:11], s[2:3], 4
	s_add_u32 s12, s12, s10
	s_addc_u32 s13, s13, s11
	global_load_dwordx2 v[2:3], v0, s[12:13]
	s_lshl_b32 s24, s2, 4
	s_mul_i32 s26, s4, 0xc0
	s_addk_i32 s24, 0x100
	s_mul_hi_i32 s25, s4, 0xc0
	s_add_u32 s8, s8, s26
	s_mul_i32 s19, s2, 48
	s_addc_u32 s9, s9, s25
	s_mul_hi_i32 s3, s2, 48
	s_add_u32 s8, s8, s19
	s_addc_u32 s9, s9, s3
	s_load_dwordx2 s[16:17], s[0:1], 0x20
	s_load_dwordx2 s[12:13], s[0:1], 0x30
	s_load_dwordx4 s[28:31], s[8:9], 0x0
	s_load_dwordx4 s[36:39], s[8:9], 0x18
	s_add_u32 s26, s8, 0xffffff40
	s_addc_u32 s27, s9, -1
	s_lshl_b32 s25, s2, 5
	s_waitcnt lgkmcnt(0)
	v_mov_b64_e32 v[4:5], s[28:29]
	s_add_i32 s3, s25, 0x80
	s_add_i32 s33, s25, 0x100
	;; [unrolled: 1-line block ×3, first 2 shown]
	v_mov_b64_e32 v[6:7], s[30:31]
	s_add_u32 s8, s8, 0xffffff58
	v_mov_b64_e32 v[8:9], s[36:37]
	scratch_store_dwordx4 off, v[4:7], s33
	scratch_store_dwordx4 off, v[4:7], s34
	s_addc_u32 s9, s9, -1
	v_mov_b64_e32 v[10:11], s[38:39]
	s_load_dwordx4 s[28:31], s[26:27], 0x0
	s_load_dwordx4 s[36:39], s[8:9], 0x0
	s_add_i32 s19, s25, 0x90
	s_add_i32 s35, s25, 0x110
	;; [unrolled: 1-line block ×3, first 2 shown]
	s_cmp_gt_i32 s4, 0
	s_cselect_b64 s[8:9], -1, 0
	s_cmp_lt_i32 s4, 1
	s_waitcnt lgkmcnt(0)
	v_mov_b64_e32 v[4:5], s[28:29]
	s_cselect_b64 s[26:27], -1, 0
	s_cmp_lg_u32 s5, 0
	v_mov_b64_e32 v[6:7], s[30:31]
	s_cselect_b64 s[28:29], -1, 0
	scratch_store_dwordx4 off, v[8:11], s35
	scratch_store_dwordx4 off, v[8:11], s40
	scratch_store_dwordx4 off, v[4:7], s25
	scratch_store_dwordx4 off, v[4:7], s3
	s_or_b64 s[26:27], s[26:27], s[28:29]
	v_add_u32_e32 v1, s24, v0
	v_mov_b64_e32 v[4:5], s[36:37]
	v_mov_b64_e32 v[6:7], s[38:39]
	s_and_b64 vcc, exec, s[26:27]
	scratch_store_dwordx4 off, v[4:7], s25 offset:16
	scratch_store_dwordx4 off, v[4:7], s19
	s_waitcnt vmcnt(8)
	ds_write_b64 v1, v[2:3]
	s_waitcnt lgkmcnt(0)
	s_barrier
	s_cbranch_vccz .LBB0_4
; %bb.1:
	s_cmp_lt_i32 s18, 1
	s_cselect_b64 s[20:21], -1, 0
	s_xor_b64 s[8:9], s[8:9], -1
	s_or_b64 s[8:9], s[8:9], s[20:21]
	s_and_b64 vcc, exec, s[8:9]
	s_cbranch_vccnz .LBB0_3
; %bb.2:
	s_add_i32 s8, s18, -1
	s_mov_b32 s9, 0
	s_lshl_b64 s[8:9], s[8:9], 6
	s_add_u32 s5, s6, s23
	s_addc_u32 s18, s7, s22
	s_add_u32 s8, s5, s8
	s_addc_u32 s9, s18, s9
	;; [unrolled: 2-line block ×3, first 2 shown]
	s_add_u32 s20, s8, 0xfffff5c0
	s_addc_u32 s21, s9, -1
	s_lshl_b32 s33, s2, 4
	s_add_i32 s48, s33, 0x200
	s_add_u32 s5, s5, s14
	s_addc_u32 s18, s18, s15
	s_add_u32 s26, s5, s10
	s_load_dwordx4 s[28:31], s[20:21], 0x0
	s_addc_u32 s27, s18, s11
	s_add_u32 s34, s26, 0xfffff5c0
	s_addc_u32 s35, s27, -1
	s_load_dwordx4 s[36:39], s[34:35], 0x0
	s_load_dwordx4 s[40:43], s[8:9], 0x0
	;; [unrolled: 1-line block ×3, first 2 shown]
	s_waitcnt lgkmcnt(0)
	v_mov_b64_e32 v[2:3], s[28:29]
	v_mov_b64_e32 v[4:5], s[30:31]
	scratch_store_dwordx4 off, v[2:5], s48
	s_add_i32 s5, s48, 64
	s_add_i32 s18, s48, 0x80
	v_mov_b64_e32 v[2:3], s[36:37]
	v_mov_b64_e32 v[4:5], s[38:39]
	scratch_store_dwordx4 off, v[2:5], s5
	v_add_u32_e32 v30, s25, v0
	s_add_i32 s20, s48, 0xc0
	v_mov_b64_e32 v[2:3], s[40:41]
	v_mov_b64_e32 v[4:5], s[42:43]
	scratch_store_dwordx4 off, v[2:5], s18
	v_add_u32_e32 v31, 0x80, v30
	v_add_u32_e32 v34, 0x90, v30
	v_mov_b64_e32 v[2:3], s[44:45]
	v_mov_b64_e32 v[4:5], s[46:47]
	scratch_store_dwordx4 off, v[2:5], s20
	s_barrier
	v_add_u32_e32 v32, 0x100, v30
	v_add_u32_e32 v33, 0x180, v30
	scratch_load_dwordx4 v[2:5], off, s48
	scratch_load_dwordx4 v[6:9], off, s5
	;; [unrolled: 1-line block ×4, first 2 shown]
	scratch_load_dwordx2 v[18:19], v0, s25
	scratch_load_dwordx2 v[20:21], v0, s25 offset:16
	scratch_load_dwordx2 v[22:23], v31, off
	scratch_load_dwordx2 v[24:25], v32, off
	;; [unrolled: 1-line block ×4, first 2 shown]
	v_add_u32_e32 v34, 0x110, v30
	s_add_u32 s8, s16, s10
	v_add_u32_e32 v35, 0x190, v30
	scratch_load_dwordx2 v[30:31], v34, off
	scratch_load_dwordx2 v[32:33], v35, off
	s_addc_u32 s9, s17, s11
	global_load_dwordx2 v[34:35], v0, s[8:9]
	global_load_dwordx2 v[36:37], v0, s[8:9] offset:64
	global_load_dwordx2 v[38:39], v0, s[8:9] offset:128
	;; [unrolled: 1-line block ×3, first 2 shown]
	v_add_u32_e32 v44, s33, v0
	v_mov_b32_e32 v45, s33
	v_mov_b32_e32 v43, s24
	s_add_u32 s5, s12, s23
	s_addc_u32 s8, s13, s22
	s_add_u32 s5, s5, s14
	s_addc_u32 s9, s8, s15
	s_add_u32 s8, s5, s10
	v_mov_b32_e32 v42, 0
	s_addc_u32 s9, s9, s11
	s_waitcnt vmcnt(9)
	v_fma_f64 v[6:7], v[6:7], v[22:23], 0
	v_fma_f64 v[2:3], v[2:3], v[18:19], 0
	s_waitcnt vmcnt(8)
	v_fma_f64 v[10:11], v[10:11], v[24:25], 0
	s_waitcnt vmcnt(7)
	v_fma_f64 v[14:15], v[14:15], v[26:27], 0
	v_fmac_f64_e32 v[2:3], v[4:5], v[20:21]
	s_waitcnt vmcnt(6)
	v_fmac_f64_e32 v[6:7], v[8:9], v[28:29]
	s_waitcnt vmcnt(5)
	;; [unrolled: 2-line block ×4, first 2 shown]
	v_mul_f64 v[2:3], v[2:3], v[34:35]
	s_waitcnt vmcnt(2)
	v_mul_f64 v[4:5], v[6:7], v[36:37]
	s_waitcnt vmcnt(1)
	;; [unrolled: 2-line block ×3, first 2 shown]
	v_mul_f64 v[8:9], v[14:15], v[40:41]
	ds_write2_b64 v44, v[2:3], v[4:5] offset1:8
	ds_write2_b64 v44, v[6:7], v[8:9] offset0:16 offset1:24
	s_waitcnt lgkmcnt(0)
	s_barrier
	ds_read_b128 v[2:5], v45
	ds_read_b128 v[6:9], v45 offset:64
	ds_read_b128 v[10:13], v45 offset:128
	ds_read_b128 v[14:17], v45 offset:192
	ds_read_b128 v[18:21], v43
	s_waitcnt lgkmcnt(3)
	v_add_f64 v[2:3], v[2:3], v[6:7]
	v_add_f64 v[4:5], v[4:5], v[8:9]
	s_waitcnt lgkmcnt(2)
	v_add_f64 v[2:3], v[2:3], v[10:11]
	v_add_f64 v[4:5], v[4:5], v[12:13]
	;; [unrolled: 3-line block ×3, first 2 shown]
	s_waitcnt lgkmcnt(0)
	v_mul_f64 v[2:3], v[2:3], v[18:19]
	v_mul_f64 v[4:5], v[4:5], v[20:21]
	global_store_dwordx4 v42, v[2:5], s[8:9]
.LBB0_3:
	s_mov_b64 s[20:21], 0
.LBB0_4:
	s_andn2_b64 vcc, exec, s[20:21]
	s_cbranch_vccnz .LBB0_9
; %bb.5:
	s_cmp_lg_u32 s4, 1
	s_mov_b64 s[4:5], -1
	s_cbranch_scc0 .LBB0_7
; %bb.6:
	s_lshl_b32 s4, s2, 5
	s_add_i32 s8, s4, 0x200
	scratch_load_dwordx4 v[2:5], off, s3
	scratch_load_dwordx4 v[6:9], off, s19
	s_add_u32 s3, s6, s23
	s_addc_u32 s4, s7, s22
	s_add_u32 s3, s3, s14
	s_addc_u32 s5, s4, s15
	;; [unrolled: 2-line block ×3, first 2 shown]
	global_load_dwordx2 v[10:11], v0, s[4:5] offset:-2624
	s_lshl_b32 s4, s2, 4
	s_add_i32 s2, s4, 0x140
	v_add_u32_e32 v12, s2, v0
	s_add_u32 s2, s16, s10
	s_addc_u32 s3, s17, s11
	s_waitcnt vmcnt(2)
	scratch_store_dwordx4 off, v[2:5], s8
	s_waitcnt vmcnt(2)
	scratch_store_dwordx4 off, v[6:9], s8 offset:16
	v_mov_b32_e32 v2, s4
	s_waitcnt vmcnt(2)
	ds_write_b64 v12, v[10:11]
	s_waitcnt lgkmcnt(0)
	s_barrier
	scratch_load_dwordx2 v[6:7], v0, s8
	global_load_dwordx2 v[8:9], v0, s[2:3] offset:64
	scratch_load_dwordx2 v[10:11], v0, s8 offset:16
	ds_read_b128 v[2:5], v2 offset:320
	ds_read_b64 v[12:13], v1
	v_add_u32_e32 v1, s4, v0
	s_add_u32 s2, s12, s23
	s_addc_u32 s3, s13, s22
	s_add_u32 s2, s2, s10
	s_addc_u32 s3, s3, s11
	s_mov_b64 s[4:5], 0
	s_waitcnt vmcnt(2) lgkmcnt(1)
	v_fma_f64 v[2:3], v[2:3], v[6:7], 0
	s_waitcnt vmcnt(1) lgkmcnt(0)
	v_mul_f64 v[6:7], v[12:13], v[8:9]
	s_waitcnt vmcnt(0)
	v_fmac_f64_e32 v[2:3], v[4:5], v[10:11]
	v_mul_f64 v[2:3], v[2:3], v[6:7]
	ds_write_b64 v1, v[2:3] offset:384
	s_waitcnt lgkmcnt(0)
	s_barrier
	ds_read_b64 v[2:3], v1 offset:384
	s_waitcnt lgkmcnt(0)
	global_store_dwordx2 v0, v[2:3], s[2:3]
.LBB0_7:
	s_andn2_b64 vcc, exec, s[4:5]
	s_cbranch_vccnz .LBB0_9
; %bb.8:
	s_load_dwordx2 s[0:1], s[0:1], 0x28
	ds_read_b64 v[4:5], v0 offset:256
	s_waitcnt lgkmcnt(0)
	s_add_u32 s0, s0, s10
	s_addc_u32 s1, s1, s11
	global_load_dwordx2 v[2:3], v0, s[0:1]
	s_add_u32 s0, s12, s10
	s_addc_u32 s1, s13, s11
	s_waitcnt vmcnt(0)
	v_mul_f64 v[2:3], v[2:3], v[4:5]
	global_store_dwordx2 v0, v[2:3], s[0:1] offset:2624
.LBB0_9:
	s_endpgm
	.section	.rodata,"a",@progbits
	.p2align	6, 0x0
	.amdhsa_kernel _Z16pair_HMM_forwardiiPA41_A4_A2_KdPA4_A2_A3_S_S3_PA2_S1_PS0_PA41_A4_A2_d
		.amdhsa_group_segment_fixed_size 448
		.amdhsa_private_segment_fixed_size 784
		.amdhsa_kernarg_size 56
		.amdhsa_user_sgpr_count 2
		.amdhsa_user_sgpr_dispatch_ptr 0
		.amdhsa_user_sgpr_queue_ptr 0
		.amdhsa_user_sgpr_kernarg_segment_ptr 1
		.amdhsa_user_sgpr_dispatch_id 0
		.amdhsa_user_sgpr_kernarg_preload_length 0
		.amdhsa_user_sgpr_kernarg_preload_offset 0
		.amdhsa_user_sgpr_private_segment_size 0
		.amdhsa_uses_dynamic_stack 0
		.amdhsa_enable_private_segment 1
		.amdhsa_system_sgpr_workgroup_id_x 1
		.amdhsa_system_sgpr_workgroup_id_y 0
		.amdhsa_system_sgpr_workgroup_id_z 0
		.amdhsa_system_sgpr_workgroup_info 0
		.amdhsa_system_vgpr_workitem_id 0
		.amdhsa_next_free_vgpr 46
		.amdhsa_next_free_sgpr 49
		.amdhsa_accum_offset 48
		.amdhsa_reserve_vcc 1
		.amdhsa_float_round_mode_32 0
		.amdhsa_float_round_mode_16_64 0
		.amdhsa_float_denorm_mode_32 3
		.amdhsa_float_denorm_mode_16_64 3
		.amdhsa_dx10_clamp 1
		.amdhsa_ieee_mode 1
		.amdhsa_fp16_overflow 0
		.amdhsa_tg_split 0
		.amdhsa_exception_fp_ieee_invalid_op 0
		.amdhsa_exception_fp_denorm_src 0
		.amdhsa_exception_fp_ieee_div_zero 0
		.amdhsa_exception_fp_ieee_overflow 0
		.amdhsa_exception_fp_ieee_underflow 0
		.amdhsa_exception_fp_ieee_inexact 0
		.amdhsa_exception_int_div_zero 0
	.end_amdhsa_kernel
	.text
.Lfunc_end0:
	.size	_Z16pair_HMM_forwardiiPA41_A4_A2_KdPA4_A2_A3_S_S3_PA2_S1_PS0_PA41_A4_A2_d, .Lfunc_end0-_Z16pair_HMM_forwardiiPA41_A4_A2_KdPA4_A2_A3_S_S3_PA2_S1_PS0_PA41_A4_A2_d
                                        ; -- End function
	.set _Z16pair_HMM_forwardiiPA41_A4_A2_KdPA4_A2_A3_S_S3_PA2_S1_PS0_PA41_A4_A2_d.num_vgpr, 46
	.set _Z16pair_HMM_forwardiiPA41_A4_A2_KdPA4_A2_A3_S_S3_PA2_S1_PS0_PA41_A4_A2_d.num_agpr, 0
	.set _Z16pair_HMM_forwardiiPA41_A4_A2_KdPA4_A2_A3_S_S3_PA2_S1_PS0_PA41_A4_A2_d.numbered_sgpr, 49
	.set _Z16pair_HMM_forwardiiPA41_A4_A2_KdPA4_A2_A3_S_S3_PA2_S1_PS0_PA41_A4_A2_d.num_named_barrier, 0
	.set _Z16pair_HMM_forwardiiPA41_A4_A2_KdPA4_A2_A3_S_S3_PA2_S1_PS0_PA41_A4_A2_d.private_seg_size, 784
	.set _Z16pair_HMM_forwardiiPA41_A4_A2_KdPA4_A2_A3_S_S3_PA2_S1_PS0_PA41_A4_A2_d.uses_vcc, 1
	.set _Z16pair_HMM_forwardiiPA41_A4_A2_KdPA4_A2_A3_S_S3_PA2_S1_PS0_PA41_A4_A2_d.uses_flat_scratch, 0
	.set _Z16pair_HMM_forwardiiPA41_A4_A2_KdPA4_A2_A3_S_S3_PA2_S1_PS0_PA41_A4_A2_d.has_dyn_sized_stack, 0
	.set _Z16pair_HMM_forwardiiPA41_A4_A2_KdPA4_A2_A3_S_S3_PA2_S1_PS0_PA41_A4_A2_d.has_recursion, 0
	.set _Z16pair_HMM_forwardiiPA41_A4_A2_KdPA4_A2_A3_S_S3_PA2_S1_PS0_PA41_A4_A2_d.has_indirect_call, 0
	.section	.AMDGPU.csdata,"",@progbits
; Kernel info:
; codeLenInByte = 1532
; TotalNumSgprs: 55
; NumVgprs: 46
; NumAgprs: 0
; TotalNumVgprs: 46
; ScratchSize: 784
; MemoryBound: 1
; FloatMode: 240
; IeeeMode: 1
; LDSByteSize: 448 bytes/workgroup (compile time only)
; SGPRBlocks: 6
; VGPRBlocks: 5
; NumSGPRsForWavesPerEU: 55
; NumVGPRsForWavesPerEU: 46
; AccumOffset: 48
; Occupancy: 8
; WaveLimiterHint : 1
; COMPUTE_PGM_RSRC2:SCRATCH_EN: 1
; COMPUTE_PGM_RSRC2:USER_SGPR: 2
; COMPUTE_PGM_RSRC2:TRAP_HANDLER: 0
; COMPUTE_PGM_RSRC2:TGID_X_EN: 1
; COMPUTE_PGM_RSRC2:TGID_Y_EN: 0
; COMPUTE_PGM_RSRC2:TGID_Z_EN: 0
; COMPUTE_PGM_RSRC2:TIDIG_COMP_CNT: 0
; COMPUTE_PGM_RSRC3_GFX90A:ACCUM_OFFSET: 11
; COMPUTE_PGM_RSRC3_GFX90A:TG_SPLIT: 0
	.text
	.p2alignl 6, 3212836864
	.fill 256, 4, 3212836864
	.section	.AMDGPU.gpr_maximums,"",@progbits
	.set amdgpu.max_num_vgpr, 0
	.set amdgpu.max_num_agpr, 0
	.set amdgpu.max_num_sgpr, 0
	.text
	.type	__hip_cuid_96e73404d353c344,@object ; @__hip_cuid_96e73404d353c344
	.section	.bss,"aw",@nobits
	.globl	__hip_cuid_96e73404d353c344
__hip_cuid_96e73404d353c344:
	.byte	0                               ; 0x0
	.size	__hip_cuid_96e73404d353c344, 1

	.ident	"AMD clang version 22.0.0git (https://github.com/RadeonOpenCompute/llvm-project roc-7.2.4 26084 f58b06dce1f9c15707c5f808fd002e18c2accf7e)"
	.section	".note.GNU-stack","",@progbits
	.addrsig
	.addrsig_sym __hip_cuid_96e73404d353c344
	.amdgpu_metadata
---
amdhsa.kernels:
  - .agpr_count:     0
    .args:
      - .offset:         0
        .size:           4
        .value_kind:     by_value
      - .offset:         4
        .size:           4
        .value_kind:     by_value
      - .actual_access:  read_only
        .address_space:  global
        .offset:         8
        .size:           8
        .value_kind:     global_buffer
      - .actual_access:  read_only
        .address_space:  global
        .offset:         16
        .size:           8
        .value_kind:     global_buffer
      - .actual_access:  read_only
        .address_space:  global
        .offset:         24
        .size:           8
        .value_kind:     global_buffer
      - .actual_access:  read_only
        .address_space:  global
        .offset:         32
        .size:           8
        .value_kind:     global_buffer
      - .actual_access:  read_only
        .address_space:  global
        .offset:         40
        .size:           8
        .value_kind:     global_buffer
      - .actual_access:  write_only
        .address_space:  global
        .offset:         48
        .size:           8
        .value_kind:     global_buffer
    .group_segment_fixed_size: 448
    .kernarg_segment_align: 8
    .kernarg_segment_size: 56
    .language:       OpenCL C
    .language_version:
      - 2
      - 0
    .max_flat_workgroup_size: 1024
    .name:           _Z16pair_HMM_forwardiiPA41_A4_A2_KdPA4_A2_A3_S_S3_PA2_S1_PS0_PA41_A4_A2_d
    .private_segment_fixed_size: 784
    .sgpr_count:     55
    .sgpr_spill_count: 0
    .symbol:         _Z16pair_HMM_forwardiiPA41_A4_A2_KdPA4_A2_A3_S_S3_PA2_S1_PS0_PA41_A4_A2_d.kd
    .uniform_work_group_size: 1
    .uses_dynamic_stack: false
    .vgpr_count:     46
    .vgpr_spill_count: 0
    .wavefront_size: 64
amdhsa.target:   amdgcn-amd-amdhsa--gfx950
amdhsa.version:
  - 1
  - 2
...

	.end_amdgpu_metadata
